;; amdgpu-corpus repo=ROCm/rocFFT kind=compiled arch=gfx1100 opt=O3
	.text
	.amdgcn_target "amdgcn-amd-amdhsa--gfx1100"
	.amdhsa_code_object_version 6
	.protected	fft_rtc_fwd_len121_factors_11_11_wgs_121_tpt_11_dp_op_CI_CI_sbrc_xy_z_diag ; -- Begin function fft_rtc_fwd_len121_factors_11_11_wgs_121_tpt_11_dp_op_CI_CI_sbrc_xy_z_diag
	.globl	fft_rtc_fwd_len121_factors_11_11_wgs_121_tpt_11_dp_op_CI_CI_sbrc_xy_z_diag
	.p2align	8
	.type	fft_rtc_fwd_len121_factors_11_11_wgs_121_tpt_11_dp_op_CI_CI_sbrc_xy_z_diag,@function
fft_rtc_fwd_len121_factors_11_11_wgs_121_tpt_11_dp_op_CI_CI_sbrc_xy_z_diag: ; @fft_rtc_fwd_len121_factors_11_11_wgs_121_tpt_11_dp_op_CI_CI_sbrc_xy_z_diag
; %bb.0:
	s_load_b256 s[4:11], s[0:1], 0x0
	s_mov_b32 s34, 0xfd768dbf
	s_mov_b32 s35, 0xbfd207e7
	;; [unrolled: 1-line block ×13, first 2 shown]
	s_waitcnt lgkmcnt(0)
	s_load_b128 s[16:19], s[8:9], 0x8
	s_load_b32 s20, s[10:11], 0x10
	s_load_b64 s[8:9], s[0:1], 0x20
	s_waitcnt lgkmcnt(0)
	s_add_i32 s2, s18, -1
	s_delay_alu instid0(SALU_CYCLE_1) | instskip(NEXT) | instid1(SALU_CYCLE_1)
	s_mul_hi_u32 s2, s2, 0xba2e8ba3
	s_lshr_b32 s2, s2, 3
	s_delay_alu instid0(SALU_CYCLE_1) | instskip(NEXT) | instid1(SALU_CYCLE_1)
	s_add_i32 s12, s2, 1
	s_mul_i32 s12, s12, s16
	s_delay_alu instid0(SALU_CYCLE_1) | instskip(SKIP_1) | instid1(VALU_DEP_1)
	v_cvt_f32_u32_e32 v1, s12
	s_sub_i32 s3, 0, s12
	v_rcp_iflag_f32_e32 v1, v1
	s_waitcnt_depctr 0xfff
	v_mul_f32_e32 v1, 0x4f7ffffe, v1
	s_delay_alu instid0(VALU_DEP_1) | instskip(NEXT) | instid1(VALU_DEP_1)
	v_cvt_u32_f32_e32 v1, v1
	v_readfirstlane_b32 s2, v1
	v_mul_u32_u24_e32 v1, 0x21e, v0
	s_delay_alu instid0(VALU_DEP_2) | instskip(NEXT) | instid1(VALU_DEP_1)
	s_mul_i32 s3, s3, s2
	v_lshrrev_b32_e32 v44, 16, v1
	s_mul_hi_u32 s3, s2, s3
	s_delay_alu instid0(SALU_CYCLE_1) | instskip(NEXT) | instid1(VALU_DEP_1)
	s_add_i32 s2, s2, s3
	v_mul_lo_u16 v7, 0x79, v44
	s_mul_hi_u32 s2, s15, s2
	s_delay_alu instid0(SALU_CYCLE_1)
	s_mul_i32 s3, s2, s12
	s_add_i32 s13, s2, 1
	s_sub_i32 s3, s15, s3
	v_sub_nc_u16 v9, v0, v7
	s_sub_i32 s14, s3, s12
	s_cmp_ge_u32 s3, s12
	s_cselect_b32 s2, s13, s2
	s_cselect_b32 s3, s14, s3
	s_add_i32 s13, s2, 1
	s_cmp_ge_u32 s3, s12
	v_and_b32_e32 v50, 0xffff, v9
	s_cselect_b32 s33, s13, s2
	s_load_b128 s[0:3], s[0:1], 0x58
	s_mul_i32 s12, s33, s12
	s_delay_alu instid0(SALU_CYCLE_1)
	s_sub_i32 s21, s15, s12
	s_load_b128 s[12:15], s[8:9], 0x0
	s_mul_hi_u32 s16, s21, 0xba2e8ba3
	s_waitcnt lgkmcnt(0)
	s_lshr_b32 s15, s16, 3
	s_load_b128 s[16:19], s[10:11], 0x0
	s_waitcnt lgkmcnt(0)
	s_mul_i32 s19, s15, 11
	v_mul_lo_u32 v48, s20, v44
	s_sub_i32 s19, s21, s19
	v_mov_b32_e32 v49, 0
	s_add_i32 s21, s15, s19
	s_load_b32 s15, s[8:9], 0x10
	s_mul_hi_u32 s24, s21, 0xecf56bf
	v_mul_u32_u24_e32 v44, 0x790, v44
	s_sub_i32 s22, s21, s24
	v_lshlrev_b64 v[1:2], 4, v[48:49]
	s_lshr_b32 s25, s22, 1
	s_lshl_b64 s[22:23], s[6:7], 3
	s_add_i32 s25, s25, s24
	s_mul_i32 s6, s19, 11
	s_lshr_b32 s7, s25, 6
	s_mul_i32 s19, s6, s20
	s_mulk_i32 s7, 0x79
	s_mul_i32 s24, s13, s6
	s_sub_i32 s44, s21, s7
	s_mul_hi_u32 s7, s12, s6
	s_mul_i32 s18, s44, s18
	s_add_i32 s7, s7, s24
	s_add_i32 s18, s18, s19
	s_add_u32 s10, s10, s22
	s_addc_u32 s11, s11, s23
	v_add_nc_u32_e32 v48, s20, v48
	s_load_b64 s[10:11], s[10:11], 0x0
	v_mad_u64_u32 v[11:12], null, s16, v50, 0
	s_mov_b32 s19, 0
	s_delay_alu instid0(VALU_DEP_2) | instskip(SKIP_3) | instid1(VALU_DEP_1)
	v_lshlrev_b64 v[3:4], 4, v[48:49]
	v_add_nc_u32_e32 v48, s20, v48
	s_mov_b32 s24, 0xd9c712b6
	s_mov_b32 s25, 0x3fda9628
	v_lshlrev_b64 v[5:6], 4, v[48:49]
	v_add_nc_u32_e32 v48, s20, v48
	s_delay_alu instid0(VALU_DEP_1) | instskip(SKIP_4) | instid1(VALU_DEP_1)
	v_lshlrev_b64 v[7:8], 4, v[48:49]
	v_add_nc_u32_e32 v48, s20, v48
	s_waitcnt lgkmcnt(0)
	s_mul_i32 s11, s11, s33
	s_mul_hi_u32 s16, s10, s33
	v_lshlrev_b64 v[9:10], 4, v[48:49]
	s_add_i32 s11, s16, s11
	s_add_u32 s8, s8, s22
	v_add_nc_u32_e32 v48, s20, v48
	s_addc_u32 s9, s9, s23
	s_mul_i32 s10, s10, s33
	s_load_b64 s[8:9], s[8:9], 0x0
	s_lshl_b64 s[10:11], s[10:11], 4
	v_lshlrev_b64 v[13:14], 4, v[48:49]
	v_add_nc_u32_e32 v48, s20, v48
	s_mov_b32 s22, 0x640f44db
	s_mov_b32 s23, 0xbfc2375f
	s_delay_alu instid0(VALU_DEP_2) | instskip(NEXT) | instid1(VALU_DEP_2)
	v_mad_u64_u32 v[17:18], null, s17, v50, v[12:13]
	v_lshlrev_b64 v[15:16], 4, v[48:49]
	v_add_nc_u32_e32 v48, s20, v48
	s_delay_alu instid0(VALU_DEP_3) | instskip(NEXT) | instid1(VALU_DEP_2)
	v_mov_b32_e32 v12, v17
	v_lshlrev_b64 v[18:19], 4, v[48:49]
	v_add_nc_u32_e32 v48, s20, v48
	s_waitcnt lgkmcnt(0)
	s_mul_i32 s9, s9, s33
	s_mul_hi_u32 s16, s8, s33
	v_lshlrev_b64 v[11:12], 4, v[11:12]
	s_add_i32 s9, s16, s9
	s_add_u32 s10, s0, s10
	s_addc_u32 s11, s1, s11
	s_lshl_b64 s[0:1], s[18:19], 4
	v_lshlrev_b64 v[20:21], 4, v[48:49]
	s_add_u32 s0, s10, s0
	s_addc_u32 s1, s11, s1
	v_add_co_u32 v17, vcc_lo, s0, v11
	v_add_co_ci_u32_e32 v43, vcc_lo, s1, v12, vcc_lo
	v_add_nc_u32_e32 v48, s20, v48
	s_delay_alu instid0(VALU_DEP_3) | instskip(NEXT) | instid1(VALU_DEP_3)
	v_add_co_u32 v1, vcc_lo, v17, v1
	v_add_co_ci_u32_e32 v2, vcc_lo, v43, v2, vcc_lo
	v_add_co_u32 v24, vcc_lo, v17, v3
	v_add_co_ci_u32_e32 v25, vcc_lo, v43, v4, vcc_lo
	;; [unrolled: 2-line block ×6, first 2 shown]
	v_add_co_u32 v34, vcc_lo, v17, v15
	v_lshlrev_b64 v[22:23], 4, v[48:49]
	v_add_nc_u32_e32 v48, s20, v48
	v_add_co_ci_u32_e32 v35, vcc_lo, v43, v16, vcc_lo
	v_add_co_u32 v36, vcc_lo, v17, v18
	v_add_co_ci_u32_e32 v37, vcc_lo, v43, v19, vcc_lo
	s_delay_alu instid0(VALU_DEP_4)
	v_lshlrev_b64 v[11:12], 4, v[48:49]
	v_add_co_u32 v38, vcc_lo, v17, v20
	v_add_co_ci_u32_e32 v39, vcc_lo, v43, v21, vcc_lo
	v_add_co_u32 v40, vcc_lo, v17, v22
	v_add_co_ci_u32_e32 v41, vcc_lo, v43, v23, vcc_lo
	;; [unrolled: 2-line block ×3, first 2 shown]
	s_clause 0xa
	global_load_b128 v[1:4], v[1:2], off
	global_load_b128 v[5:8], v[24:25], off
	;; [unrolled: 1-line block ×11, first 2 shown]
	v_mul_u32_u24_e32 v41, 0x1746, v0
	s_mov_b32 s0, 0xf8bb580b
	s_mov_b32 s16, 0x8eee2c13
	;; [unrolled: 1-line block ×4, first 2 shown]
	v_lshrrev_b32_e32 v51, 16, v41
	s_mov_b32 s10, 0x43842ef
	s_mov_b32 s11, 0xbfefac9e
	;; [unrolled: 1-line block ×4, first 2 shown]
	v_add_nc_u32_e32 v41, s6, v51
	s_mov_b32 s38, s10
	s_mov_b32 s36, s0
	;; [unrolled: 1-line block ×3, first 2 shown]
	s_mul_i32 s8, s8, s33
	v_and_b32_e32 v42, 0xff, v41
	s_lshl_b64 s[8:9], s[8:9], 4
	s_mul_i32 s6, s12, s6
	s_mul_i32 s18, s44, s15
	s_delay_alu instid0(VALU_DEP_1) | instskip(NEXT) | instid1(VALU_DEP_1)
	v_mul_lo_u16 v42, 0x75, v42
	v_lshrrev_b16 v42, 8, v42
	s_delay_alu instid0(VALU_DEP_1) | instskip(NEXT) | instid1(VALU_DEP_1)
	v_sub_nc_u16 v43, v41, v42
	v_lshrrev_b16 v43, 1, v43
	s_delay_alu instid0(VALU_DEP_1) | instskip(NEXT) | instid1(VALU_DEP_1)
	v_and_b32_e32 v43, 0x7f, v43
	v_add_nc_u16 v42, v43, v42
	v_mul_lo_u16 v43, v51, 11
	s_delay_alu instid0(VALU_DEP_2) | instskip(NEXT) | instid1(VALU_DEP_2)
	v_lshrrev_b16 v42, 3, v42
	v_sub_nc_u16 v0, v0, v43
	s_delay_alu instid0(VALU_DEP_2) | instskip(NEXT) | instid1(VALU_DEP_2)
	v_mul_lo_u16 v42, v42, 11
	v_and_b32_e32 v52, 0xffff, v0
	s_delay_alu instid0(VALU_DEP_2) | instskip(SKIP_1) | instid1(VALU_DEP_2)
	v_sub_nc_u16 v41, v41, v42
	v_lshlrev_b32_e32 v42, 4, v50
	v_and_b32_e32 v41, 0xff, v41
	s_delay_alu instid0(VALU_DEP_2) | instskip(SKIP_1) | instid1(VALU_DEP_3)
	v_add3_u32 v0, 0, v44, v42
	v_lshlrev_b32_e32 v42, 4, v52
	v_mul_u32_u24_e32 v41, 0x79, v41
	s_delay_alu instid0(VALU_DEP_3)
	v_add_nc_u32_e32 v43, 0x1800, v0
	v_add_nc_u32_e32 v53, 0x2000, v0
	;; [unrolled: 1-line block ×4, first 2 shown]
	v_lshlrev_b32_e32 v41, 4, v41
	v_add_nc_u32_e32 v56, 0x3800, v0
	v_add_nc_u32_e32 v57, 0x4000, v0
	;; [unrolled: 1-line block ×3, first 2 shown]
	s_waitcnt vmcnt(10)
	ds_store_b128 v0, v[1:4]
	s_waitcnt vmcnt(9)
	ds_store_b128 v0, v[5:8] offset:1936
	s_waitcnt vmcnt(8)
	ds_store_b128 v0, v[9:12] offset:3872
	;; [unrolled: 2-line block ×3, first 2 shown]
	s_waitcnt vmcnt(6)
	ds_store_2addr_b64 v43, v[17:18], v[19:20] offset0:200 offset1:201
	s_waitcnt vmcnt(5)
	ds_store_2addr_b64 v53, v[21:22], v[23:24] offset0:186 offset1:187
	;; [unrolled: 2-line block ×7, first 2 shown]
	v_add3_u32 v44, 0, v41, v42
	v_add3_u32 v50, 0, v42, v41
	s_waitcnt lgkmcnt(0)
	s_barrier
	buffer_gl0_inv
	ds_load_b128 v[4:7], v44
	ds_load_b128 v[16:19], v50 offset:176
	ds_load_b128 v[0:3], v50 offset:1760
	;; [unrolled: 1-line block ×10, first 2 shown]
	s_waitcnt lgkmcnt(0)
	s_barrier
	buffer_gl0_inv
	v_add_f64 v[45:46], v[4:5], v[16:17]
	v_add_f64 v[47:48], v[6:7], v[18:19]
	v_add_f64 v[53:54], v[18:19], -v[2:3]
	v_add_f64 v[55:56], v[16:17], -v[0:1]
	;; [unrolled: 1-line block ×4, first 2 shown]
	v_add_f64 v[81:82], v[32:33], v[12:13]
	v_add_f64 v[83:84], v[34:35], v[14:15]
	v_add_f64 v[57:58], v[30:31], -v[10:11]
	v_add_f64 v[59:60], v[28:29], -v[8:9]
	v_add_f64 v[16:17], v[16:17], v[0:1]
	v_add_f64 v[18:19], v[18:19], v[2:3]
	;; [unrolled: 1-line block ×4, first 2 shown]
	v_add_f64 v[77:78], v[42:43], -v[22:23]
	v_add_f64 v[79:80], v[40:41], -v[20:21]
	v_add_f64 v[67:68], v[38:39], v[26:27]
	v_add_f64 v[71:72], v[38:39], -v[26:27]
	v_add_f64 v[65:66], v[36:37], v[24:25]
	;; [unrolled: 2-line block ×3, first 2 shown]
	v_add_f64 v[47:48], v[47:48], v[30:31]
	v_mul_f64 v[85:86], v[53:54], s[0:1]
	v_mul_f64 v[87:88], v[55:56], s[0:1]
	;; [unrolled: 1-line block ×10, first 2 shown]
	v_add_f64 v[28:29], v[28:29], v[8:9]
	v_add_f64 v[30:31], v[30:31], v[10:11]
	v_mul_f64 v[101:102], v[57:58], s[16:17]
	v_mul_f64 v[103:104], v[59:60], s[16:17]
	;; [unrolled: 1-line block ×24, first 2 shown]
	v_add_f64 v[32:33], v[45:46], v[32:33]
	v_add_f64 v[34:35], v[47:48], v[34:35]
	v_mul_f64 v[45:46], v[57:58], s[20:21]
	v_mul_f64 v[47:48], v[57:58], s[40:41]
	;; [unrolled: 1-line block ×3, first 2 shown]
	v_fma_f64 v[161:162], v[16:17], s[24:25], -v[89:90]
	v_fma_f64 v[163:164], v[18:19], s[24:25], v[91:92]
	v_fma_f64 v[89:90], v[16:17], s[24:25], v[89:90]
	v_fma_f64 v[165:166], v[16:17], s[22:23], -v[93:94]
	v_fma_f64 v[167:168], v[18:19], s[22:23], v[95:96]
	v_fma_f64 v[93:94], v[16:17], s[22:23], v[93:94]
	;; [unrolled: 3-line block ×3, first 2 shown]
	v_fma_f64 v[173:174], v[16:17], s[30:31], -v[53:54]
	v_fma_f64 v[175:176], v[18:19], s[30:31], v[55:56]
	v_fma_f64 v[91:92], v[18:19], s[24:25], -v[91:92]
	v_fma_f64 v[95:96], v[18:19], s[22:23], -v[95:96]
	;; [unrolled: 1-line block ×4, first 2 shown]
	v_fma_f64 v[109:110], v[28:29], s[22:23], v[109:110]
	v_fma_f64 v[187:188], v[30:31], s[30:31], v[113:114]
	;; [unrolled: 1-line block ×3, first 2 shown]
	v_mul_f64 v[141:142], v[79:80], s[0:1]
	v_fma_f64 v[189:190], v[81:82], s[24:25], -v[119:120]
	v_fma_f64 v[119:120], v[81:82], s[24:25], v[119:120]
	v_fma_f64 v[191:192], v[81:82], s[26:27], -v[121:122]
	v_fma_f64 v[121:122], v[81:82], s[26:27], v[121:122]
	;; [unrolled: 2-line block ×3, first 2 shown]
	v_mul_f64 v[143:144], v[79:80], s[34:35]
	v_mul_f64 v[79:80], v[79:80], s[42:43]
	;; [unrolled: 1-line block ×8, first 2 shown]
	v_add_f64 v[32:33], v[32:33], v[40:41]
	v_add_f64 v[34:35], v[34:35], v[42:43]
	v_fma_f64 v[40:41], v[16:17], s[26:27], -v[85:86]
	v_fma_f64 v[42:43], v[18:19], s[26:27], v[87:88]
	v_fma_f64 v[85:86], v[16:17], s[26:27], v[85:86]
	v_fma_f64 v[87:88], v[18:19], s[26:27], -v[87:88]
	v_fma_f64 v[16:17], v[16:17], s[30:31], v[53:54]
	v_fma_f64 v[18:19], v[18:19], s[30:31], -v[55:56]
	;; [unrolled: 2-line block ×3, first 2 shown]
	v_fma_f64 v[101:102], v[28:29], s[24:25], -v[101:102]
	v_fma_f64 v[179:180], v[28:29], s[28:29], -v[45:46]
	v_fma_f64 v[45:46], v[28:29], s[28:29], v[45:46]
	v_fma_f64 v[181:182], v[28:29], s[30:31], -v[47:48]
	v_fma_f64 v[47:48], v[28:29], s[30:31], v[47:48]
	;; [unrolled: 2-line block ×3, first 2 shown]
	v_fma_f64 v[57:58], v[30:31], s[24:25], v[103:104]
	v_fma_f64 v[103:104], v[30:31], s[28:29], v[111:112]
	v_add_f64 v[161:162], v[4:5], v[161:162]
	v_add_f64 v[163:164], v[6:7], v[163:164]
	;; [unrolled: 1-line block ×11, first 2 shown]
	v_fma_f64 v[111:112], v[30:31], s[28:29], -v[111:112]
	v_add_f64 v[95:96], v[6:7], v[95:96]
	v_add_f64 v[91:92], v[6:7], v[91:92]
	v_fma_f64 v[195:196], v[73:74], s[22:23], -v[131:132]
	v_fma_f64 v[131:132], v[73:74], s[22:23], v[131:132]
	v_fma_f64 v[197:198], v[73:74], s[26:27], -v[133:134]
	v_fma_f64 v[133:134], v[73:74], s[26:27], v[133:134]
	v_fma_f64 v[199:200], v[73:74], s[30:31], -v[135:136]
	v_add_f64 v[32:33], v[32:33], v[36:37]
	v_add_f64 v[34:35], v[34:35], v[38:39]
	;; [unrolled: 1-line block ×3, first 2 shown]
	v_fma_f64 v[38:39], v[30:31], s[22:23], v[115:116]
	v_add_f64 v[85:86], v[4:5], v[85:86]
	v_add_f64 v[87:88], v[6:7], v[87:88]
	v_fma_f64 v[36:37], v[30:31], s[30:31], -v[113:114]
	v_fma_f64 v[113:114], v[30:31], s[22:23], -v[115:116]
	v_fma_f64 v[115:116], v[30:31], s[26:27], v[59:60]
	v_fma_f64 v[30:31], v[30:31], s[26:27], -v[59:60]
	v_add_f64 v[4:5], v[4:5], v[16:17]
	v_add_f64 v[16:17], v[6:7], v[18:19]
	;; [unrolled: 1-line block ×4, first 2 shown]
	v_fma_f64 v[59:60], v[81:82], s[22:23], -v[105:106]
	v_fma_f64 v[105:106], v[81:82], s[30:31], -v[117:118]
	v_fma_f64 v[117:118], v[81:82], s[30:31], v[117:118]
	v_fma_f64 v[81:82], v[83:84], s[22:23], -v[107:108]
	v_fma_f64 v[42:43], v[83:84], s[24:25], v[125:126]
	v_fma_f64 v[99:100], v[83:84], s[24:25], -v[125:126]
	v_fma_f64 v[125:126], v[83:84], s[26:27], -v[127:128]
	v_add_f64 v[45:46], v[45:46], v[89:90]
	v_add_f64 v[89:90], v[181:182], v[165:166]
	v_fma_f64 v[107:108], v[83:84], s[22:23], v[107:108]
	v_add_f64 v[47:48], v[47:48], v[93:94]
	v_add_f64 v[93:94], v[183:184], v[169:170]
	v_fma_f64 v[135:136], v[73:74], s[30:31], v[135:136]
	v_add_f64 v[97:98], v[109:110], v[97:98]
	v_mul_f64 v[145:146], v[71:72], s[34:35]
	v_mul_f64 v[151:152], v[71:72], s[20:21]
	;; [unrolled: 1-line block ×4, first 2 shown]
	v_add_f64 v[24:25], v[32:33], v[24:25]
	v_add_f64 v[26:27], v[34:35], v[26:27]
	v_fma_f64 v[32:33], v[83:84], s[30:31], v[123:124]
	v_add_f64 v[40:41], v[101:102], v[40:41]
	v_add_f64 v[53:54], v[53:54], v[85:86]
	v_add_f64 v[55:56], v[55:56], v[87:88]
	v_add_f64 v[85:86], v[179:180], v[161:162]
	v_add_f64 v[87:88], v[103:104], v[163:164]
	v_add_f64 v[101:102], v[187:188], v[167:168]
	v_fma_f64 v[34:35], v[83:84], s[30:31], -v[123:124]
	v_fma_f64 v[123:124], v[83:84], s[26:27], v[127:128]
	v_add_f64 v[38:39], v[38:39], v[171:172]
	v_fma_f64 v[127:128], v[83:84], s[28:29], v[63:64]
	v_add_f64 v[103:104], v[185:186], v[173:174]
	v_add_f64 v[109:110], v[115:116], v[175:176]
	v_fma_f64 v[63:64], v[83:84], s[28:29], -v[63:64]
	v_add_f64 v[4:5], v[28:29], v[4:5]
	v_add_f64 v[16:17], v[30:31], v[16:17]
	v_add_f64 v[18:19], v[113:114], v[18:19]
	v_add_f64 v[28:29], v[36:37], v[95:96]
	v_add_f64 v[30:31], v[111:112], v[91:92]
	v_add_f64 v[6:7], v[57:58], v[6:7]
	v_fma_f64 v[83:84], v[73:74], s[28:29], v[129:130]
	v_fma_f64 v[129:130], v[73:74], s[28:29], -v[129:130]
	v_fma_f64 v[36:37], v[75:76], s[28:29], -v[137:138]
	v_fma_f64 v[91:92], v[75:76], s[26:27], v[141:142]
	v_add_f64 v[45:46], v[117:118], v[45:46]
	v_fma_f64 v[111:112], v[75:76], s[30:31], v[143:144]
	v_fma_f64 v[115:116], v[75:76], s[24:25], v[79:80]
	;; [unrolled: 1-line block ×3, first 2 shown]
	v_fma_f64 v[95:96], v[75:76], s[26:27], -v[141:142]
	v_fma_f64 v[113:114], v[75:76], s[30:31], -v[143:144]
	v_add_f64 v[47:48], v[119:120], v[47:48]
	v_fma_f64 v[141:142], v[65:66], s[26:27], -v[149:150]
	v_fma_f64 v[137:138], v[67:68], s[30:31], -v[147:148]
	v_add_f64 v[20:21], v[24:25], v[20:21]
	v_add_f64 v[22:23], v[26:27], v[22:23]
	v_fma_f64 v[24:25], v[73:74], s[24:25], -v[77:78]
	v_fma_f64 v[26:27], v[73:74], s[24:25], v[77:78]
	v_fma_f64 v[73:74], v[75:76], s[22:23], v[139:140]
	v_add_f64 v[55:56], v[81:82], v[55:56]
	v_add_f64 v[40:41], v[59:60], v[40:41]
	v_add_f64 v[59:60], v[105:106], v[85:86]
	v_add_f64 v[32:33], v[32:33], v[87:88]
	v_add_f64 v[81:82], v[189:190], v[89:90]
	v_add_f64 v[42:43], v[42:43], v[101:102]
	v_add_f64 v[85:86], v[191:192], v[93:94]
	v_add_f64 v[38:39], v[123:124], v[38:39]
	v_add_f64 v[53:54], v[177:178], v[53:54]
	v_add_f64 v[89:90], v[193:194], v[103:104]
	v_add_f64 v[93:94], v[127:128], v[109:110]
	v_fma_f64 v[77:78], v[75:76], s[22:23], -v[139:140]
	v_fma_f64 v[75:76], v[75:76], s[24:25], -v[79:80]
	v_add_f64 v[4:5], v[61:62], v[4:5]
	v_add_f64 v[16:17], v[63:64], v[16:17]
	;; [unrolled: 1-line block ×7, first 2 shown]
	v_fma_f64 v[109:110], v[67:68], s[26:27], v[69:70]
	v_fma_f64 v[79:80], v[65:66], s[30:31], v[145:146]
	v_fma_f64 v[139:140], v[65:66], s[30:31], -v[145:146]
	v_fma_f64 v[34:35], v[65:66], s[28:29], v[151:152]
	v_fma_f64 v[61:62], v[65:66], s[24:25], -v[153:154]
	;; [unrolled: 2-line block ×3, first 2 shown]
	v_add_f64 v[45:46], v[131:132], v[45:46]
	v_fma_f64 v[101:102], v[67:68], s[24:25], v[157:158]
	v_fma_f64 v[105:106], v[67:68], s[22:23], v[159:160]
	v_fma_f64 v[107:108], v[67:68], s[22:23], -v[159:160]
	v_fma_f64 v[103:104], v[67:68], s[24:25], -v[157:158]
	v_add_f64 v[47:48], v[133:134], v[47:48]
	v_add_f64 v[12:13], v[20:21], v[12:13]
	;; [unrolled: 1-line block ×3, first 2 shown]
	v_fma_f64 v[20:21], v[65:66], s[26:27], v[149:150]
	v_fma_f64 v[22:23], v[65:66], s[28:29], -v[151:152]
	v_fma_f64 v[65:66], v[65:66], s[22:23], v[71:72]
	v_add_f64 v[36:37], v[36:37], v[55:56]
	v_fma_f64 v[71:72], v[67:68], s[28:29], v[155:156]
	v_add_f64 v[55:56], v[195:196], v[59:60]
	v_add_f64 v[32:33], v[73:74], v[32:33]
	;; [unrolled: 1-line block ×10, first 2 shown]
	v_fma_f64 v[99:100], v[67:68], s[28:29], -v[155:156]
	v_add_f64 v[26:27], v[26:27], v[4:5]
	v_add_f64 v[75:76], v[75:76], v[16:17]
	;; [unrolled: 1-line block ×5, first 2 shown]
	v_fma_f64 v[69:70], v[67:68], s[26:27], -v[69:70]
	v_add_f64 v[77:78], v[77:78], v[30:31]
	v_fma_f64 v[67:68], v[67:68], s[30:31], v[147:148]
	v_add_f64 v[57:58], v[57:58], v[6:7]
	v_add_f64 v[24:25], v[34:35], v[47:48]
	;; [unrolled: 1-line block ×5, first 2 shown]
	v_mul_u32_u24_e32 v45, 10, v52
	v_mad_u32_u24 v46, 0xa0, v52, v50
	v_add_f64 v[6:7], v[137:138], v[36:37]
	v_mul_lo_u32 v48, s14, v51
	v_add_f64 v[12:13], v[141:142], v[55:56]
	v_add_f64 v[14:15], v[109:110], v[32:33]
	;; [unrolled: 1-line block ×10, first 2 shown]
	v_lshlrev_b32_e32 v45, 4, v45
	v_add_f64 v[40:41], v[65:66], v[26:27]
	v_add_f64 v[42:43], v[107:108], v[75:76]
	;; [unrolled: 1-line block ×9, first 2 shown]
	ds_store_b128 v46, v[12:15] offset:32
	ds_store_b128 v46, v[20:23] offset:48
	ds_store_b128 v46, v[28:31] offset:64
	ds_store_b128 v46, v[36:39] offset:80
	ds_store_b128 v46, v[40:43] offset:96
	ds_store_b128 v46, v[32:35] offset:112
	ds_store_b128 v46, v[24:27] offset:128
	ds_store_b128 v46, v[16:19] offset:144
	ds_store_b128 v46, v[4:7] offset:160
	ds_store_b128 v46, v[8:11] offset:16
	ds_store_b128 v46, v[0:3]
	s_waitcnt lgkmcnt(0)
	s_barrier
	buffer_gl0_inv
	s_clause 0x9
	global_load_b128 v[16:19], v45, s[4:5]
	global_load_b128 v[36:39], v45, s[4:5] offset:144
	global_load_b128 v[24:27], v45, s[4:5] offset:16
	;; [unrolled: 1-line block ×9, first 2 shown]
	ds_load_b128 v[40:43], v50 offset:176
	ds_load_b128 v[44:47], v44
	ds_load_b128 v[53:56], v50 offset:1760
	ds_load_b128 v[57:60], v50 offset:352
	ds_load_b128 v[61:64], v50 offset:528
	ds_load_b128 v[65:68], v50 offset:1584
	ds_load_b128 v[69:72], v50 offset:1408
	ds_load_b128 v[73:76], v50 offset:704
	ds_load_b128 v[77:80], v50 offset:880
	ds_load_b128 v[81:84], v50 offset:1056
	ds_load_b128 v[85:88], v50 offset:1232
	s_mul_i32 s4, s14, 11
	s_add_u32 s5, s2, s8
	s_addc_u32 s8, s3, s9
	s_lshl_b64 s[2:3], s[6:7], 4
	s_waitcnt vmcnt(0) lgkmcnt(0)
	s_add_u32 s6, s5, s2
	s_addc_u32 s5, s8, s3
	s_lshl_b64 s[2:3], s[18:19], 4
	s_barrier
	buffer_gl0_inv
	v_mul_f64 v[89:90], v[42:43], v[18:19]
	v_mul_f64 v[91:92], v[40:41], v[18:19]
	;; [unrolled: 1-line block ×19, first 2 shown]
	v_lshlrev_b64 v[18:19], 4, v[48:49]
	v_add_nc_u32_e32 v48, s4, v48
	s_delay_alu instid0(VALU_DEP_1)
	v_lshlrev_b64 v[22:23], 4, v[48:49]
	v_add_nc_u32_e32 v48, s4, v48
	v_fma_f64 v[40:41], v[40:41], v[16:17], -v[89:90]
	v_fma_f64 v[42:43], v[42:43], v[16:17], v[91:92]
	v_mul_f64 v[91:92], v[75:76], v[6:7]
	v_fma_f64 v[6:7], v[55:56], v[36:37], v[93:94]
	v_fma_f64 v[10:11], v[53:54], v[36:37], -v[38:39]
	v_fma_f64 v[37:38], v[57:58], v[24:25], -v[95:96]
	v_fma_f64 v[24:25], v[59:60], v[24:25], v[26:27]
	v_fma_f64 v[53:54], v[67:68], v[32:33], v[101:102]
	v_fma_f64 v[32:33], v[65:66], v[32:33], -v[34:35]
	v_fma_f64 v[34:35], v[71:72], v[28:29], v[103:104]
	v_fma_f64 v[28:29], v[69:70], v[28:29], -v[30:31]
	v_fma_f64 v[26:27], v[61:62], v[20:21], -v[97:98]
	v_fma_f64 v[20:21], v[63:64], v[20:21], v[99:100]
	v_mad_u64_u32 v[89:90], null, s12, v52, 0
	v_mul_u32_u24_e32 v39, 0x790, v52
	v_fma_f64 v[65:66], v[83:84], v[0:1], v[115:116]
	v_fma_f64 v[0:1], v[81:82], v[0:1], -v[117:118]
	v_fma_f64 v[63:64], v[77:78], v[8:9], -v[111:112]
	v_fma_f64 v[8:9], v[79:80], v[8:9], v[113:114]
	v_lshlrev_b64 v[16:17], 4, v[48:49]
	v_mov_b32_e32 v36, v90
	v_add_nc_u32_e32 v48, s4, v48
	s_delay_alu instid0(VALU_DEP_1) | instskip(SKIP_1) | instid1(VALU_DEP_1)
	v_lshlrev_b64 v[2:3], 4, v[48:49]
	v_add_nc_u32_e32 v48, s4, v48
	v_lshlrev_b64 v[14:15], 4, v[48:49]
	v_add_nc_u32_e32 v48, s4, v48
	v_add_f64 v[30:31], v[44:45], v[40:41]
	v_add_f64 v[55:56], v[46:47], v[42:43]
	s_delay_alu instid0(VALU_DEP_3)
	v_lshlrev_b64 v[59:60], 4, v[48:49]
	v_add_f64 v[69:70], v[42:43], -v[6:7]
	v_add_f64 v[71:72], v[40:41], -v[10:11]
	v_mad_u64_u32 v[57:58], null, s13, v52, v[36:37]
	v_lshlrev_b32_e32 v36, 4, v51
	v_fma_f64 v[51:52], v[73:74], v[4:5], -v[91:92]
	v_fma_f64 v[4:5], v[75:76], v[4:5], v[105:106]
	v_add_f64 v[77:78], v[24:25], -v[53:54]
	v_add_f64 v[83:84], v[26:27], -v[28:29]
	;; [unrolled: 1-line block ×3, first 2 shown]
	v_mov_b32_e32 v90, v57
	v_fma_f64 v[57:58], v[87:88], v[12:13], v[107:108]
	v_add_f64 v[87:88], v[26:27], v[28:29]
	v_fma_f64 v[12:13], v[85:86], v[12:13], -v[109:110]
	v_add3_u32 v223, 0, v39, v36
	v_lshlrev_b64 v[73:74], 4, v[89:90]
	v_add_f64 v[89:90], v[20:21], v[34:35]
	v_add_f64 v[79:80], v[37:38], -v[32:33]
	v_add_f64 v[39:40], v[40:41], v[10:11]
	v_add_f64 v[41:42], v[42:43], v[6:7]
	v_add_f64 v[99:100], v[8:9], -v[65:66]
	v_add_f64 v[101:102], v[63:64], v[0:1]
	v_add_f64 v[103:104], v[63:64], -v[0:1]
	v_add_f64 v[105:106], v[8:9], v[65:66]
	v_add_nc_u32_e32 v48, s4, v48
	s_delay_alu instid0(VALU_DEP_1)
	v_lshlrev_b64 v[61:62], 4, v[48:49]
	v_add_nc_u32_e32 v48, s4, v48
	v_add_f64 v[30:31], v[30:31], v[37:38]
	v_add_f64 v[55:56], v[55:56], v[24:25]
	;; [unrolled: 1-line block ×3, first 2 shown]
	v_mul_f64 v[107:108], v[69:70], s[0:1]
	v_mul_f64 v[109:110], v[71:72], s[0:1]
	;; [unrolled: 1-line block ×10, first 2 shown]
	v_add_f64 v[24:25], v[24:25], v[53:54]
	v_add_f64 v[91:92], v[4:5], -v[57:58]
	v_add_f64 v[97:98], v[4:5], v[57:58]
	v_add_f64 v[93:94], v[51:52], v[12:13]
	v_add_f64 v[95:96], v[51:52], -v[12:13]
	v_mul_f64 v[123:124], v[77:78], s[16:17]
	v_mul_f64 v[127:128], v[81:82], s[10:11]
	;; [unrolled: 1-line block ×20, first 2 shown]
	v_add_f64 v[26:27], v[30:31], v[26:27]
	v_add_f64 v[20:21], v[55:56], v[20:21]
	v_mul_f64 v[30:31], v[77:78], s[20:21]
	v_mul_f64 v[55:56], v[79:80], s[20:21]
	;; [unrolled: 1-line block ×4, first 2 shown]
	v_fma_f64 v[183:184], v[39:40], s[24:25], -v[111:112]
	v_fma_f64 v[185:186], v[41:42], s[24:25], v[113:114]
	v_fma_f64 v[187:188], v[39:40], s[22:23], -v[115:116]
	v_fma_f64 v[189:190], v[41:42], s[22:23], v[117:118]
	;; [unrolled: 2-line block ×4, first 2 shown]
	v_fma_f64 v[111:112], v[39:40], s[24:25], v[111:112]
	v_fma_f64 v[113:114], v[41:42], s[24:25], -v[113:114]
	v_fma_f64 v[115:116], v[39:40], s[22:23], v[115:116]
	v_fma_f64 v[117:118], v[41:42], s[22:23], -v[117:118]
	;; [unrolled: 2-line block ×3, first 2 shown]
	v_mul_f64 v[151:152], v[91:92], s[20:21]
	v_fma_f64 v[205:206], v[87:88], s[30:31], -v[131:132]
	v_fma_f64 v[209:210], v[36:37], s[30:31], -v[135:136]
	v_fma_f64 v[211:212], v[24:25], s[30:31], v[137:138]
	v_fma_f64 v[213:214], v[87:88], s[24:25], -v[139:140]
	v_fma_f64 v[215:216], v[36:37], s[22:23], -v[143:144]
	v_fma_f64 v[217:218], v[24:25], s[22:23], v[145:146]
	v_fma_f64 v[219:220], v[87:88], s[26:27], -v[147:148]
	v_fma_f64 v[131:132], v[87:88], s[30:31], v[131:132]
	v_fma_f64 v[139:140], v[87:88], s[24:25], v[139:140]
	v_mul_f64 v[153:154], v[91:92], s[38:39]
	v_mul_f64 v[161:162], v[95:96], s[38:39]
	v_fma_f64 v[207:208], v[89:90], s[30:31], v[133:134]
	v_mul_f64 v[155:156], v[91:92], s[0:1]
	v_mul_f64 v[163:164], v[95:96], s[0:1]
	;; [unrolled: 1-line block ×5, first 2 shown]
	v_add_f64 v[26:27], v[26:27], v[51:52]
	v_add_f64 v[4:5], v[20:21], v[4:5]
	v_fma_f64 v[20:21], v[39:40], s[26:27], -v[107:108]
	v_fma_f64 v[51:52], v[41:42], s[26:27], v[109:110]
	v_fma_f64 v[107:108], v[39:40], s[26:27], v[107:108]
	v_fma_f64 v[109:110], v[41:42], s[26:27], -v[109:110]
	v_fma_f64 v[38:39], v[39:40], s[30:31], v[69:70]
	v_fma_f64 v[40:41], v[41:42], s[30:31], -v[71:72]
	;; [unrolled: 2-line block ×5, first 2 shown]
	v_fma_f64 v[123:124], v[36:37], s[24:25], -v[123:124]
	v_fma_f64 v[55:56], v[24:25], s[28:29], -v[55:56]
	v_fma_f64 v[125:126], v[24:25], s[24:25], v[125:126]
	v_fma_f64 v[127:128], v[87:88], s[22:23], -v[127:128]
	v_add_f64 v[111:112], v[44:45], v[111:112]
	v_add_f64 v[115:116], v[44:45], v[115:116]
	;; [unrolled: 1-line block ×4, first 2 shown]
	v_mul_f64 v[165:166], v[95:96], s[34:35]
	v_fma_f64 v[199:200], v[89:90], s[22:23], -v[129:130]
	v_mul_f64 v[95:96], v[95:96], s[42:43]
	v_mul_f64 v[167:168], v[99:100], s[34:35]
	;; [unrolled: 1-line block ×7, first 2 shown]
	s_add_u32 s0, s6, s2
	s_addc_u32 s1, s5, s3
	v_lshlrev_b64 v[67:68], 4, v[48:49]
	v_add_nc_u32_e32 v48, s4, v48
	v_add_f64 v[26:27], v[26:27], v[63:64]
	v_add_f64 v[4:5], v[4:5], v[8:9]
	v_fma_f64 v[8:9], v[36:37], s[28:29], v[30:31]
	v_fma_f64 v[30:31], v[36:37], s[30:31], v[135:136]
	;; [unrolled: 1-line block ×5, first 2 shown]
	v_fma_f64 v[135:136], v[24:25], s[30:31], -v[137:138]
	v_fma_f64 v[137:138], v[24:25], s[22:23], -v[145:146]
	;; [unrolled: 1-line block ×4, first 2 shown]
	v_fma_f64 v[143:144], v[87:88], s[26:27], v[147:148]
	v_fma_f64 v[81:82], v[87:88], s[28:29], v[81:82]
	v_add_f64 v[87:88], v[44:45], v[107:108]
	v_add_f64 v[107:108], v[46:47], v[109:110]
	;; [unrolled: 1-line block ×16, first 2 shown]
	v_fma_f64 v[121:122], v[89:90], s[22:23], v[129:130]
	v_fma_f64 v[129:130], v[89:90], s[26:27], v[149:150]
	v_fma_f64 v[51:52], v[89:90], s[30:31], -v[133:134]
	v_fma_f64 v[133:134], v[89:90], s[26:27], -v[149:150]
	v_add_f64 v[55:56], v[55:56], v[113:114]
	v_fma_f64 v[149:150], v[93:94], s[28:29], -v[151:152]
	v_fma_f64 v[193:194], v[93:94], s[26:27], -v[155:156]
	v_fma_f64 v[113:114], v[97:98], s[26:27], v[163:164]
	v_fma_f64 v[155:156], v[93:94], s[26:27], v[155:156]
	v_add_f64 v[0:1], v[26:27], v[0:1]
	v_add_f64 v[4:5], v[4:5], v[65:66]
	v_fma_f64 v[26:27], v[89:90], s[24:25], v[141:142]
	v_fma_f64 v[65:66], v[89:90], s[24:25], -v[141:142]
	v_fma_f64 v[141:142], v[89:90], s[28:29], v[83:84]
	v_fma_f64 v[83:84], v[89:90], s[28:29], -v[83:84]
	v_add_f64 v[30:31], v[30:31], v[115:116]
	v_add_f64 v[8:9], v[8:9], v[111:112]
	v_fma_f64 v[89:90], v[93:94], s[28:29], v[151:152]
	v_fma_f64 v[151:152], v[93:94], s[22:23], -v[153:154]
	v_fma_f64 v[153:154], v[93:94], s[22:23], v[153:154]
	v_fma_f64 v[195:196], v[93:94], s[30:31], -v[157:158]
	v_fma_f64 v[157:158], v[93:94], s[30:31], v[157:158]
	v_add_f64 v[42:43], v[42:43], v[87:88]
	v_add_f64 v[69:70], v[69:70], v[107:108]
	;; [unrolled: 1-line block ×17, first 2 shown]
	v_fma_f64 v[63:64], v[97:98], s[22:23], v[161:162]
	v_fma_f64 v[117:118], v[97:98], s[30:31], v[165:166]
	;; [unrolled: 1-line block ×3, first 2 shown]
	v_fma_f64 v[95:96], v[97:98], s[24:25], -v[95:96]
	v_fma_f64 v[119:120], v[97:98], s[30:31], -v[165:166]
	v_fma_f64 v[115:116], v[97:98], s[26:27], -v[163:164]
	v_add_f64 v[51:52], v[51:52], v[55:56]
	v_fma_f64 v[111:112], v[97:98], s[28:29], v[159:160]
	v_add_f64 v[0:1], v[0:1], v[12:13]
	v_add_f64 v[4:5], v[4:5], v[57:58]
	v_fma_f64 v[12:13], v[93:94], s[24:25], -v[91:92]
	v_fma_f64 v[57:58], v[93:94], s[24:25], v[91:92]
	v_fma_f64 v[93:94], v[97:98], s[28:29], -v[159:160]
	v_fma_f64 v[91:92], v[97:98], s[22:23], -v[161:162]
	v_add_f64 v[30:31], v[139:140], v[30:31]
	v_add_f64 v[8:9], v[131:132], v[8:9]
	v_fma_f64 v[135:136], v[101:102], s[26:27], -v[169:170]
	v_fma_f64 v[131:132], v[105:106], s[28:29], v[179:180]
	v_fma_f64 v[97:98], v[101:102], s[30:31], v[167:168]
	v_fma_f64 v[125:126], v[101:102], s[30:31], -v[167:168]
	v_fma_f64 v[137:138], v[101:102], s[26:27], v[169:170]
	v_add_f64 v[42:43], v[71:72], v[42:43]
	v_add_f64 v[69:70], v[199:200], v[69:70]
	;; [unrolled: 1-line block ×17, first 2 shown]
	v_fma_f64 v[121:122], v[105:106], s[26:27], v[177:178]
	v_fma_f64 v[55:56], v[101:102], s[28:29], v[171:172]
	;; [unrolled: 1-line block ×3, first 2 shown]
	v_fma_f64 v[81:82], v[101:102], s[22:23], -v[99:100]
	v_fma_f64 v[83:84], v[101:102], s[22:23], v[99:100]
	v_fma_f64 v[99:100], v[105:106], s[30:31], -v[175:176]
	v_fma_f64 v[127:128], v[105:106], s[26:27], -v[177:178]
	;; [unrolled: 1-line block ×3, first 2 shown]
	v_add_f64 v[0:1], v[0:1], v[28:29]
	v_add_f64 v[4:5], v[4:5], v[34:35]
	v_fma_f64 v[28:29], v[101:102], s[28:29], -v[171:172]
	v_fma_f64 v[34:35], v[101:102], s[24:25], -v[173:174]
	v_fma_f64 v[101:102], v[105:106], s[30:31], v[175:176]
	v_fma_f64 v[139:140], v[105:106], s[24:25], v[181:182]
	v_fma_f64 v[141:142], v[105:106], s[24:25], -v[181:182]
	v_fma_f64 v[143:144], v[105:106], s[22:23], v[103:104]
	v_fma_f64 v[103:104], v[105:106], s[22:23], -v[103:104]
	v_add_f64 v[8:9], v[153:154], v[8:9]
	v_add_f64 v[91:92], v[91:92], v[51:52]
	v_lshlrev_b64 v[75:76], 4, v[48:49]
	v_add_nc_u32_e32 v48, s4, v48
	v_add_f64 v[42:43], v[89:90], v[42:43]
	v_add_f64 v[69:70], v[93:94], v[69:70]
	;; [unrolled: 1-line block ×18, first 2 shown]
	v_add_co_u32 v123, vcc_lo, s0, v73
	v_add_co_ci_u32_e32 v124, vcc_lo, s1, v74, vcc_lo
	v_lshlrev_b64 v[85:86], 4, v[48:49]
	s_delay_alu instid0(VALU_DEP_3)
	v_add_co_u32 v117, vcc_lo, v123, v18
	v_add_f64 v[0:1], v[0:1], v[32:33]
	v_add_f64 v[115:116], v[4:5], v[53:54]
	v_add_co_ci_u32_e32 v118, vcc_lo, v124, v19, vcc_lo
	v_add_co_u32 v119, vcc_lo, v123, v22
	v_add_co_ci_u32_e32 v120, vcc_lo, v124, v23, vcc_lo
	v_add_nc_u32_e32 v48, s4, v48
	v_add_f64 v[46:47], v[137:138], v[8:9]
	s_delay_alu instid0(VALU_DEP_2)
	v_lshlrev_b64 v[73:74], 4, v[48:49]
	v_add_f64 v[48:49], v[127:128], v[91:92]
	v_add_f64 v[22:23], v[135:136], v[71:72]
	;; [unrolled: 1-line block ×19, first 2 shown]
	v_add_co_u32 v63, vcc_lo, v123, v16
	v_add_co_ci_u32_e32 v64, vcc_lo, v124, v17, vcc_lo
	v_add_co_u32 v65, vcc_lo, v123, v2
	v_add_f64 v[4:5], v[0:1], v[10:11]
	v_add_f64 v[6:7], v[115:116], v[6:7]
	v_add_co_ci_u32_e32 v66, vcc_lo, v124, v3, vcc_lo
	v_add_co_u32 v69, vcc_lo, v123, v14
	v_add_co_ci_u32_e32 v70, vcc_lo, v124, v15, vcc_lo
	ds_store_b128 v50, v[22:25] offset:352
	ds_store_b128 v50, v[26:29] offset:528
	ds_store_b128 v50, v[30:33] offset:704
	ds_store_b128 v50, v[34:37] offset:880
	ds_store_b128 v50, v[38:41] offset:1056
	ds_store_b128 v50, v[55:58] offset:1232
	ds_store_b128 v50, v[51:54] offset:1408
	ds_store_b128 v50, v[46:49] offset:1584
	ds_store_b128 v50, v[18:21] offset:1760
	ds_store_b128 v50, v[42:45] offset:176
	ds_store_b128 v50, v[4:7]
	s_waitcnt lgkmcnt(0)
	s_barrier
	buffer_gl0_inv
	ds_load_b128 v[0:3], v223
	ds_load_b128 v[4:7], v223 offset:176
	ds_load_b128 v[8:11], v223 offset:352
	;; [unrolled: 1-line block ×10, first 2 shown]
	v_add_co_u32 v59, vcc_lo, v123, v59
	v_add_co_ci_u32_e32 v60, vcc_lo, v124, v60, vcc_lo
	v_add_co_u32 v61, vcc_lo, v123, v61
	v_add_co_ci_u32_e32 v62, vcc_lo, v124, v62, vcc_lo
	;; [unrolled: 2-line block ×6, first 2 shown]
	s_waitcnt lgkmcnt(10)
	global_store_b128 v[117:118], v[0:3], off
	s_waitcnt lgkmcnt(9)
	global_store_b128 v[119:120], v[4:7], off
	;; [unrolled: 2-line block ×11, first 2 shown]
	s_nop 0
	s_sendmsg sendmsg(MSG_DEALLOC_VGPRS)
	s_endpgm
	.section	.rodata,"a",@progbits
	.p2align	6, 0x0
	.amdhsa_kernel fft_rtc_fwd_len121_factors_11_11_wgs_121_tpt_11_dp_op_CI_CI_sbrc_xy_z_diag
		.amdhsa_group_segment_fixed_size 0
		.amdhsa_private_segment_fixed_size 0
		.amdhsa_kernarg_size 104
		.amdhsa_user_sgpr_count 15
		.amdhsa_user_sgpr_dispatch_ptr 0
		.amdhsa_user_sgpr_queue_ptr 0
		.amdhsa_user_sgpr_kernarg_segment_ptr 1
		.amdhsa_user_sgpr_dispatch_id 0
		.amdhsa_user_sgpr_private_segment_size 0
		.amdhsa_wavefront_size32 1
		.amdhsa_uses_dynamic_stack 0
		.amdhsa_enable_private_segment 0
		.amdhsa_system_sgpr_workgroup_id_x 1
		.amdhsa_system_sgpr_workgroup_id_y 0
		.amdhsa_system_sgpr_workgroup_id_z 0
		.amdhsa_system_sgpr_workgroup_info 0
		.amdhsa_system_vgpr_workitem_id 0
		.amdhsa_next_free_vgpr 224
		.amdhsa_next_free_sgpr 45
		.amdhsa_reserve_vcc 1
		.amdhsa_float_round_mode_32 0
		.amdhsa_float_round_mode_16_64 0
		.amdhsa_float_denorm_mode_32 3
		.amdhsa_float_denorm_mode_16_64 3
		.amdhsa_dx10_clamp 1
		.amdhsa_ieee_mode 1
		.amdhsa_fp16_overflow 0
		.amdhsa_workgroup_processor_mode 1
		.amdhsa_memory_ordered 1
		.amdhsa_forward_progress 0
		.amdhsa_shared_vgpr_count 0
		.amdhsa_exception_fp_ieee_invalid_op 0
		.amdhsa_exception_fp_denorm_src 0
		.amdhsa_exception_fp_ieee_div_zero 0
		.amdhsa_exception_fp_ieee_overflow 0
		.amdhsa_exception_fp_ieee_underflow 0
		.amdhsa_exception_fp_ieee_inexact 0
		.amdhsa_exception_int_div_zero 0
	.end_amdhsa_kernel
	.text
.Lfunc_end0:
	.size	fft_rtc_fwd_len121_factors_11_11_wgs_121_tpt_11_dp_op_CI_CI_sbrc_xy_z_diag, .Lfunc_end0-fft_rtc_fwd_len121_factors_11_11_wgs_121_tpt_11_dp_op_CI_CI_sbrc_xy_z_diag
                                        ; -- End function
	.section	.AMDGPU.csdata,"",@progbits
; Kernel info:
; codeLenInByte = 7632
; NumSgprs: 47
; NumVgprs: 224
; ScratchSize: 0
; MemoryBound: 0
; FloatMode: 240
; IeeeMode: 1
; LDSByteSize: 0 bytes/workgroup (compile time only)
; SGPRBlocks: 5
; VGPRBlocks: 27
; NumSGPRsForWavesPerEU: 47
; NumVGPRsForWavesPerEU: 224
; Occupancy: 6
; WaveLimiterHint : 1
; COMPUTE_PGM_RSRC2:SCRATCH_EN: 0
; COMPUTE_PGM_RSRC2:USER_SGPR: 15
; COMPUTE_PGM_RSRC2:TRAP_HANDLER: 0
; COMPUTE_PGM_RSRC2:TGID_X_EN: 1
; COMPUTE_PGM_RSRC2:TGID_Y_EN: 0
; COMPUTE_PGM_RSRC2:TGID_Z_EN: 0
; COMPUTE_PGM_RSRC2:TIDIG_COMP_CNT: 0
	.text
	.p2alignl 7, 3214868480
	.fill 96, 4, 3214868480
	.type	__hip_cuid_b20d87062a9fd9f0,@object ; @__hip_cuid_b20d87062a9fd9f0
	.section	.bss,"aw",@nobits
	.globl	__hip_cuid_b20d87062a9fd9f0
__hip_cuid_b20d87062a9fd9f0:
	.byte	0                               ; 0x0
	.size	__hip_cuid_b20d87062a9fd9f0, 1

	.ident	"AMD clang version 19.0.0git (https://github.com/RadeonOpenCompute/llvm-project roc-6.4.0 25133 c7fe45cf4b819c5991fe208aaa96edf142730f1d)"
	.section	".note.GNU-stack","",@progbits
	.addrsig
	.addrsig_sym __hip_cuid_b20d87062a9fd9f0
	.amdgpu_metadata
---
amdhsa.kernels:
  - .args:
      - .actual_access:  read_only
        .address_space:  global
        .offset:         0
        .size:           8
        .value_kind:     global_buffer
      - .offset:         8
        .size:           8
        .value_kind:     by_value
      - .actual_access:  read_only
        .address_space:  global
        .offset:         16
        .size:           8
        .value_kind:     global_buffer
      - .actual_access:  read_only
        .address_space:  global
        .offset:         24
        .size:           8
        .value_kind:     global_buffer
      - .actual_access:  read_only
        .address_space:  global
        .offset:         32
        .size:           8
        .value_kind:     global_buffer
      - .offset:         40
        .size:           8
        .value_kind:     by_value
      - .actual_access:  read_only
        .address_space:  global
        .offset:         48
        .size:           8
        .value_kind:     global_buffer
      - .actual_access:  read_only
        .address_space:  global
        .offset:         56
        .size:           8
        .value_kind:     global_buffer
      - .offset:         64
        .size:           4
        .value_kind:     by_value
      - .actual_access:  read_only
        .address_space:  global
        .offset:         72
        .size:           8
        .value_kind:     global_buffer
      - .actual_access:  read_only
        .address_space:  global
        .offset:         80
        .size:           8
        .value_kind:     global_buffer
      - .actual_access:  read_only
        .address_space:  global
        .offset:         88
        .size:           8
        .value_kind:     global_buffer
      - .actual_access:  write_only
        .address_space:  global
        .offset:         96
        .size:           8
        .value_kind:     global_buffer
    .group_segment_fixed_size: 0
    .kernarg_segment_align: 8
    .kernarg_segment_size: 104
    .language:       OpenCL C
    .language_version:
      - 2
      - 0
    .max_flat_workgroup_size: 121
    .name:           fft_rtc_fwd_len121_factors_11_11_wgs_121_tpt_11_dp_op_CI_CI_sbrc_xy_z_diag
    .private_segment_fixed_size: 0
    .sgpr_count:     47
    .sgpr_spill_count: 0
    .symbol:         fft_rtc_fwd_len121_factors_11_11_wgs_121_tpt_11_dp_op_CI_CI_sbrc_xy_z_diag.kd
    .uniform_work_group_size: 1
    .uses_dynamic_stack: false
    .vgpr_count:     224
    .vgpr_spill_count: 0
    .wavefront_size: 32
    .workgroup_processor_mode: 1
amdhsa.target:   amdgcn-amd-amdhsa--gfx1100
amdhsa.version:
  - 1
  - 2
...

	.end_amdgpu_metadata
